;; amdgpu-corpus repo=ROCm/rocFFT kind=compiled arch=gfx1030 opt=O3
	.text
	.amdgcn_target "amdgcn-amd-amdhsa--gfx1030"
	.amdhsa_code_object_version 6
	.protected	fft_rtc_back_len630_factors_3_3_5_7_2_wgs_63_tpt_63_halfLds_dp_op_CI_CI_unitstride_sbrr_dirReg ; -- Begin function fft_rtc_back_len630_factors_3_3_5_7_2_wgs_63_tpt_63_halfLds_dp_op_CI_CI_unitstride_sbrr_dirReg
	.globl	fft_rtc_back_len630_factors_3_3_5_7_2_wgs_63_tpt_63_halfLds_dp_op_CI_CI_unitstride_sbrr_dirReg
	.p2align	8
	.type	fft_rtc_back_len630_factors_3_3_5_7_2_wgs_63_tpt_63_halfLds_dp_op_CI_CI_unitstride_sbrr_dirReg,@function
fft_rtc_back_len630_factors_3_3_5_7_2_wgs_63_tpt_63_halfLds_dp_op_CI_CI_unitstride_sbrr_dirReg: ; @fft_rtc_back_len630_factors_3_3_5_7_2_wgs_63_tpt_63_halfLds_dp_op_CI_CI_unitstride_sbrr_dirReg
; %bb.0:
	s_clause 0x2
	s_load_dwordx4 s[12:15], s[4:5], 0x0
	s_load_dwordx4 s[8:11], s[4:5], 0x58
	;; [unrolled: 1-line block ×3, first 2 shown]
	v_mul_u32_u24_e32 v1, 0x411, v0
	v_mov_b32_e32 v3, 0
	v_add_nc_u32_sdwa v5, s6, v1 dst_sel:DWORD dst_unused:UNUSED_PAD src0_sel:DWORD src1_sel:WORD_1
	v_mov_b32_e32 v1, 0
	v_mov_b32_e32 v6, v3
	v_mov_b32_e32 v2, 0
	s_waitcnt lgkmcnt(0)
	v_cmp_lt_u64_e64 s0, s[14:15], 2
	s_and_b32 vcc_lo, exec_lo, s0
	s_cbranch_vccnz .LBB0_8
; %bb.1:
	s_load_dwordx2 s[0:1], s[4:5], 0x10
	v_mov_b32_e32 v1, 0
	v_mov_b32_e32 v2, 0
	s_add_u32 s2, s18, 8
	s_addc_u32 s3, s19, 0
	s_add_u32 s6, s16, 8
	s_addc_u32 s7, s17, 0
	v_mov_b32_e32 v71, v2
	v_mov_b32_e32 v70, v1
	s_mov_b64 s[22:23], 1
	s_waitcnt lgkmcnt(0)
	s_add_u32 s20, s0, 8
	s_addc_u32 s21, s1, 0
.LBB0_2:                                ; =>This Inner Loop Header: Depth=1
	s_load_dwordx2 s[24:25], s[20:21], 0x0
                                        ; implicit-def: $vgpr74_vgpr75
	s_mov_b32 s0, exec_lo
	s_waitcnt lgkmcnt(0)
	v_or_b32_e32 v4, s25, v6
	v_cmpx_ne_u64_e32 0, v[3:4]
	s_xor_b32 s1, exec_lo, s0
	s_cbranch_execz .LBB0_4
; %bb.3:                                ;   in Loop: Header=BB0_2 Depth=1
	v_cvt_f32_u32_e32 v4, s24
	v_cvt_f32_u32_e32 v7, s25
	s_sub_u32 s0, 0, s24
	s_subb_u32 s26, 0, s25
	v_fmac_f32_e32 v4, 0x4f800000, v7
	v_rcp_f32_e32 v4, v4
	v_mul_f32_e32 v4, 0x5f7ffffc, v4
	v_mul_f32_e32 v7, 0x2f800000, v4
	v_trunc_f32_e32 v7, v7
	v_fmac_f32_e32 v4, 0xcf800000, v7
	v_cvt_u32_f32_e32 v7, v7
	v_cvt_u32_f32_e32 v4, v4
	v_mul_lo_u32 v8, s0, v7
	v_mul_hi_u32 v9, s0, v4
	v_mul_lo_u32 v10, s26, v4
	v_add_nc_u32_e32 v8, v9, v8
	v_mul_lo_u32 v9, s0, v4
	v_add_nc_u32_e32 v8, v8, v10
	v_mul_hi_u32 v10, v4, v9
	v_mul_lo_u32 v11, v4, v8
	v_mul_hi_u32 v12, v4, v8
	v_mul_hi_u32 v13, v7, v9
	v_mul_lo_u32 v9, v7, v9
	v_mul_hi_u32 v14, v7, v8
	v_mul_lo_u32 v8, v7, v8
	v_add_co_u32 v10, vcc_lo, v10, v11
	v_add_co_ci_u32_e32 v11, vcc_lo, 0, v12, vcc_lo
	v_add_co_u32 v9, vcc_lo, v10, v9
	v_add_co_ci_u32_e32 v9, vcc_lo, v11, v13, vcc_lo
	v_add_co_ci_u32_e32 v10, vcc_lo, 0, v14, vcc_lo
	v_add_co_u32 v8, vcc_lo, v9, v8
	v_add_co_ci_u32_e32 v9, vcc_lo, 0, v10, vcc_lo
	v_add_co_u32 v4, vcc_lo, v4, v8
	v_add_co_ci_u32_e32 v7, vcc_lo, v7, v9, vcc_lo
	v_mul_hi_u32 v8, s0, v4
	v_mul_lo_u32 v10, s26, v4
	v_mul_lo_u32 v9, s0, v7
	v_add_nc_u32_e32 v8, v8, v9
	v_mul_lo_u32 v9, s0, v4
	v_add_nc_u32_e32 v8, v8, v10
	v_mul_hi_u32 v10, v4, v9
	v_mul_lo_u32 v11, v4, v8
	v_mul_hi_u32 v12, v4, v8
	v_mul_hi_u32 v13, v7, v9
	v_mul_lo_u32 v9, v7, v9
	v_mul_hi_u32 v14, v7, v8
	v_mul_lo_u32 v8, v7, v8
	v_add_co_u32 v10, vcc_lo, v10, v11
	v_add_co_ci_u32_e32 v11, vcc_lo, 0, v12, vcc_lo
	v_add_co_u32 v9, vcc_lo, v10, v9
	v_add_co_ci_u32_e32 v9, vcc_lo, v11, v13, vcc_lo
	v_add_co_ci_u32_e32 v10, vcc_lo, 0, v14, vcc_lo
	v_add_co_u32 v8, vcc_lo, v9, v8
	v_add_co_ci_u32_e32 v9, vcc_lo, 0, v10, vcc_lo
	v_add_co_u32 v4, vcc_lo, v4, v8
	v_add_co_ci_u32_e32 v11, vcc_lo, v7, v9, vcc_lo
	v_mul_hi_u32 v13, v5, v4
	v_mad_u64_u32 v[9:10], null, v6, v4, 0
	v_mad_u64_u32 v[7:8], null, v5, v11, 0
	;; [unrolled: 1-line block ×3, first 2 shown]
	v_add_co_u32 v4, vcc_lo, v13, v7
	v_add_co_ci_u32_e32 v7, vcc_lo, 0, v8, vcc_lo
	v_add_co_u32 v4, vcc_lo, v4, v9
	v_add_co_ci_u32_e32 v4, vcc_lo, v7, v10, vcc_lo
	v_add_co_ci_u32_e32 v7, vcc_lo, 0, v12, vcc_lo
	v_add_co_u32 v4, vcc_lo, v4, v11
	v_add_co_ci_u32_e32 v9, vcc_lo, 0, v7, vcc_lo
	v_mul_lo_u32 v10, s25, v4
	v_mad_u64_u32 v[7:8], null, s24, v4, 0
	v_mul_lo_u32 v11, s24, v9
	v_sub_co_u32 v7, vcc_lo, v5, v7
	v_add3_u32 v8, v8, v11, v10
	v_sub_nc_u32_e32 v10, v6, v8
	v_subrev_co_ci_u32_e64 v10, s0, s25, v10, vcc_lo
	v_add_co_u32 v11, s0, v4, 2
	v_add_co_ci_u32_e64 v12, s0, 0, v9, s0
	v_sub_co_u32 v13, s0, v7, s24
	v_sub_co_ci_u32_e32 v8, vcc_lo, v6, v8, vcc_lo
	v_subrev_co_ci_u32_e64 v10, s0, 0, v10, s0
	v_cmp_le_u32_e32 vcc_lo, s24, v13
	v_cmp_eq_u32_e64 s0, s25, v8
	v_cndmask_b32_e64 v13, 0, -1, vcc_lo
	v_cmp_le_u32_e32 vcc_lo, s25, v10
	v_cndmask_b32_e64 v14, 0, -1, vcc_lo
	v_cmp_le_u32_e32 vcc_lo, s24, v7
	;; [unrolled: 2-line block ×3, first 2 shown]
	v_cndmask_b32_e64 v15, 0, -1, vcc_lo
	v_cmp_eq_u32_e32 vcc_lo, s25, v10
	v_cndmask_b32_e64 v7, v15, v7, s0
	v_cndmask_b32_e32 v10, v14, v13, vcc_lo
	v_add_co_u32 v13, vcc_lo, v4, 1
	v_add_co_ci_u32_e32 v14, vcc_lo, 0, v9, vcc_lo
	v_cmp_ne_u32_e32 vcc_lo, 0, v10
	v_cndmask_b32_e32 v8, v14, v12, vcc_lo
	v_cndmask_b32_e32 v10, v13, v11, vcc_lo
	v_cmp_ne_u32_e32 vcc_lo, 0, v7
	v_cndmask_b32_e32 v75, v9, v8, vcc_lo
	v_cndmask_b32_e32 v74, v4, v10, vcc_lo
.LBB0_4:                                ;   in Loop: Header=BB0_2 Depth=1
	s_andn2_saveexec_b32 s0, s1
	s_cbranch_execz .LBB0_6
; %bb.5:                                ;   in Loop: Header=BB0_2 Depth=1
	v_cvt_f32_u32_e32 v4, s24
	s_sub_i32 s1, 0, s24
	v_mov_b32_e32 v75, v3
	v_rcp_iflag_f32_e32 v4, v4
	v_mul_f32_e32 v4, 0x4f7ffffe, v4
	v_cvt_u32_f32_e32 v4, v4
	v_mul_lo_u32 v7, s1, v4
	v_mul_hi_u32 v7, v4, v7
	v_add_nc_u32_e32 v4, v4, v7
	v_mul_hi_u32 v4, v5, v4
	v_mul_lo_u32 v7, v4, s24
	v_add_nc_u32_e32 v8, 1, v4
	v_sub_nc_u32_e32 v7, v5, v7
	v_subrev_nc_u32_e32 v9, s24, v7
	v_cmp_le_u32_e32 vcc_lo, s24, v7
	v_cndmask_b32_e32 v7, v7, v9, vcc_lo
	v_cndmask_b32_e32 v4, v4, v8, vcc_lo
	v_cmp_le_u32_e32 vcc_lo, s24, v7
	v_add_nc_u32_e32 v8, 1, v4
	v_cndmask_b32_e32 v74, v4, v8, vcc_lo
.LBB0_6:                                ;   in Loop: Header=BB0_2 Depth=1
	s_or_b32 exec_lo, exec_lo, s0
	v_mul_lo_u32 v4, v75, s24
	v_mul_lo_u32 v9, v74, s25
	s_load_dwordx2 s[0:1], s[6:7], 0x0
	v_mad_u64_u32 v[7:8], null, v74, s24, 0
	s_load_dwordx2 s[24:25], s[2:3], 0x0
	s_add_u32 s22, s22, 1
	s_addc_u32 s23, s23, 0
	s_add_u32 s2, s2, 8
	s_addc_u32 s3, s3, 0
	s_add_u32 s6, s6, 8
	v_add3_u32 v4, v8, v9, v4
	v_sub_co_u32 v5, vcc_lo, v5, v7
	s_addc_u32 s7, s7, 0
	s_add_u32 s20, s20, 8
	v_sub_co_ci_u32_e32 v4, vcc_lo, v6, v4, vcc_lo
	s_addc_u32 s21, s21, 0
	s_waitcnt lgkmcnt(0)
	v_mul_lo_u32 v6, s0, v4
	v_mul_lo_u32 v7, s1, v5
	v_mad_u64_u32 v[1:2], null, s0, v5, v[1:2]
	v_mul_lo_u32 v4, s24, v4
	v_mul_lo_u32 v8, s25, v5
	v_mad_u64_u32 v[70:71], null, s24, v5, v[70:71]
	v_cmp_ge_u64_e64 s0, s[22:23], s[14:15]
	v_add3_u32 v2, v7, v2, v6
	v_add3_u32 v71, v8, v71, v4
	s_and_b32 vcc_lo, exec_lo, s0
	s_cbranch_vccnz .LBB0_9
; %bb.7:                                ;   in Loop: Header=BB0_2 Depth=1
	v_mov_b32_e32 v5, v74
	v_mov_b32_e32 v6, v75
	s_branch .LBB0_2
.LBB0_8:
	v_mov_b32_e32 v71, v2
	v_mov_b32_e32 v75, v6
	;; [unrolled: 1-line block ×4, first 2 shown]
.LBB0_9:
	s_load_dwordx2 s[0:1], s[4:5], 0x28
	v_mul_hi_u32 v3, 0x4104105, v0
	s_lshl_b64 s[4:5], s[14:15], 3
                                        ; implicit-def: $vgpr72
	s_add_u32 s2, s18, s4
	s_addc_u32 s3, s19, s5
	s_waitcnt lgkmcnt(0)
	v_cmp_gt_u64_e32 vcc_lo, s[0:1], v[74:75]
	v_cmp_le_u64_e64 s0, s[0:1], v[74:75]
	s_and_saveexec_b32 s1, s0
	s_xor_b32 s0, exec_lo, s1
; %bb.10:
	v_mul_u32_u24_e32 v1, 63, v3
                                        ; implicit-def: $vgpr3
	v_sub_nc_u32_e32 v72, v0, v1
                                        ; implicit-def: $vgpr0
                                        ; implicit-def: $vgpr1_vgpr2
; %bb.11:
	s_or_saveexec_b32 s1, s0
	s_load_dwordx2 s[2:3], s[2:3], 0x0
                                        ; implicit-def: $vgpr60_vgpr61
                                        ; implicit-def: $vgpr56_vgpr57
                                        ; implicit-def: $vgpr48_vgpr49
                                        ; implicit-def: $vgpr32_vgpr33
                                        ; implicit-def: $vgpr40_vgpr41
                                        ; implicit-def: $vgpr36_vgpr37
                                        ; implicit-def: $vgpr24_vgpr25
                                        ; implicit-def: $vgpr44_vgpr45
                                        ; implicit-def: $vgpr10_vgpr11
                                        ; implicit-def: $vgpr28_vgpr29
                                        ; implicit-def: $vgpr52_vgpr53
                                        ; implicit-def: $vgpr6_vgpr7
	s_xor_b32 exec_lo, exec_lo, s1
	s_cbranch_execz .LBB0_15
; %bb.12:
	s_add_u32 s4, s16, s4
	s_addc_u32 s5, s17, s5
	v_lshlrev_b64 v[1:2], 4, v[1:2]
	s_load_dwordx2 s[4:5], s[4:5], 0x0
                                        ; implicit-def: $vgpr46_vgpr47
                                        ; implicit-def: $vgpr54_vgpr55
                                        ; implicit-def: $vgpr58_vgpr59
	s_waitcnt lgkmcnt(0)
	v_mul_lo_u32 v6, s5, v74
	v_mul_lo_u32 v7, s4, v75
	v_mad_u64_u32 v[4:5], null, s4, v74, 0
	s_mov_b32 s4, exec_lo
	v_add3_u32 v5, v5, v7, v6
	v_mul_u32_u24_e32 v6, 63, v3
	v_lshlrev_b64 v[3:4], 4, v[4:5]
	v_sub_nc_u32_e32 v72, v0, v6
	v_add_co_u32 v0, s0, s8, v3
	v_add_co_ci_u32_e64 v3, s0, s9, v4, s0
	v_lshlrev_b32_e32 v4, 4, v72
	v_add_co_u32 v0, s0, v0, v1
	v_add_co_ci_u32_e64 v1, s0, v3, v2, s0
	v_add_co_u32 v14, s0, v0, v4
	v_add_co_ci_u32_e64 v15, s0, 0, v1, s0
	s_clause 0x1
	global_load_dwordx4 v[4:7], v[14:15], off
	global_load_dwordx4 v[8:11], v[14:15], off offset:1008
	v_add_co_u32 v2, s0, 0x800, v14
	v_add_co_ci_u32_e64 v3, s0, 0, v15, s0
	v_add_co_u32 v0, s0, 0x1800, v14
	v_add_co_ci_u32_e64 v1, s0, 0, v15, s0
	;; [unrolled: 2-line block ×4, first 2 shown]
	s_clause 0x6
	global_load_dwordx4 v[26:29], v[0:1], off offset:576
	global_load_dwordx4 v[22:25], v[0:1], off offset:1584
	;; [unrolled: 1-line block ×7, first 2 shown]
	v_cmpx_gt_u32_e32 21, v72
; %bb.13:
	s_clause 0x2
	global_load_dwordx4 v[46:49], v[2:3], off offset:976
	global_load_dwordx4 v[54:57], v[0:1], off offset:240
	;; [unrolled: 1-line block ×3, first 2 shown]
; %bb.14:
	s_or_b32 exec_lo, exec_lo, s4
.LBB0_15:
	s_or_b32 exec_lo, exec_lo, s1
	s_waitcnt vmcnt(4)
	v_add_f64 v[0:1], v[26:27], v[50:51]
	s_waitcnt vmcnt(2)
	v_add_f64 v[2:3], v[22:23], v[42:43]
	;; [unrolled: 2-line block ×3, first 2 shown]
	v_add_f64 v[14:15], v[58:59], v[54:55]
	v_add_f64 v[16:17], v[50:51], v[4:5]
	v_add_f64 v[18:19], v[52:53], -v[28:29]
	v_add_f64 v[20:21], v[42:43], v[8:9]
	v_add_f64 v[62:63], v[38:39], v[34:35]
	v_add_f64 v[64:65], v[54:55], v[46:47]
	v_add_f64 v[66:67], v[40:41], -v[32:33]
	s_mov_b32 s0, 0xe8584caa
	s_mov_b32 s1, 0xbfebb67a
	;; [unrolled: 1-line block ×4, first 2 shown]
	v_fma_f64 v[0:1], v[0:1], -0.5, v[4:5]
	v_add_f64 v[4:5], v[44:45], -v[24:25]
	v_fma_f64 v[8:9], v[2:3], -0.5, v[8:9]
	v_fma_f64 v[12:13], v[12:13], -0.5, v[34:35]
	v_add_f64 v[34:35], v[56:57], -v[60:61]
	v_fma_f64 v[14:15], v[14:15], -0.5, v[46:47]
	v_add_f64 v[16:17], v[26:27], v[16:17]
	v_add_f64 v[20:21], v[22:23], v[20:21]
	;; [unrolled: 1-line block ×4, first 2 shown]
	v_fma_f64 v[64:65], v[18:19], s[0:1], v[0:1]
	v_fma_f64 v[18:19], v[18:19], s[4:5], v[0:1]
	;; [unrolled: 1-line block ×8, first 2 shown]
	v_mad_u32_u24 v8, v72, 24, 0
	v_cmp_gt_u32_e64 s0, 21, v72
	v_add_nc_u32_e32 v46, 0xbd0, v8
	v_add_nc_u32_e32 v9, 0x11b8, v8
	ds_write2_b64 v8, v[16:17], v[64:65] offset1:1
	ds_write2_b64 v8, v[20:21], v[68:69] offset0:189 offset1:190
	ds_write2_b64 v8, v[18:19], v[76:77] offset0:2 offset1:191
	ds_write2_b64 v46, v[62:63], v[78:79] offset1:1
	ds_write_b64 v8, v[12:13] offset:3040
	s_and_saveexec_b32 s1, s0
	s_cbranch_execz .LBB0_17
; %bb.16:
	ds_write2_b64 v9, v[2:3], v[4:5] offset1:1
	ds_write_b64 v8, v[0:1] offset:4552
.LBB0_17:
	s_or_b32 exec_lo, exec_lo, s1
	v_lshlrev_b32_e32 v12, 4, v72
	s_waitcnt lgkmcnt(0)
	s_barrier
	buffer_gl0_inv
	v_sub_nc_u32_e32 v80, v8, v12
	v_add_nc_u32_e32 v12, 0x800, v80
	ds_read2_b64 v[18:21], v80 offset1:63
	ds_read2_b64 v[14:17], v80 offset0:126 offset1:210
	ds_read2_b64 v[66:69], v12 offset0:164 offset1:227
	;; [unrolled: 1-line block ×3, first 2 shown]
	ds_read_b64 v[34:35], v80 offset:4368
	s_and_saveexec_b32 s1, s0
	s_cbranch_execz .LBB0_19
; %bb.18:
	v_add_nc_u32_e32 v0, 0x500, v80
	ds_read2_b64 v[2:5], v0 offset0:29 offset1:239
	ds_read_b64 v[0:1], v80 offset:4872
.LBB0_19:
	s_or_b32 exec_lo, exec_lo, s1
	v_add_f64 v[12:13], v[28:29], v[52:53]
	v_add_f64 v[76:77], v[24:25], v[44:45]
	;; [unrolled: 1-line block ×5, first 2 shown]
	v_add_f64 v[26:27], v[50:51], -v[26:27]
	v_add_f64 v[44:45], v[44:45], v[10:11]
	v_add_f64 v[40:41], v[40:41], v[36:37]
	v_add_f64 v[50:51], v[56:57], v[48:49]
	v_add_f64 v[30:31], v[38:39], -v[30:31]
	v_add_f64 v[38:39], v[54:55], -v[58:59]
	s_mov_b32 s4, 0xe8584caa
	s_mov_b32 s5, 0x3febb67a
	;; [unrolled: 1-line block ×4, first 2 shown]
	s_waitcnt lgkmcnt(0)
	s_barrier
	buffer_gl0_inv
	v_fma_f64 v[6:7], v[12:13], -0.5, v[6:7]
	v_add_f64 v[12:13], v[42:43], -v[22:23]
	v_fma_f64 v[22:23], v[76:77], -0.5, v[10:11]
	v_fma_f64 v[36:37], v[78:79], -0.5, v[36:37]
	v_fma_f64 v[42:43], v[81:82], -0.5, v[48:49]
	v_add_f64 v[28:29], v[28:29], v[52:53]
	v_add_f64 v[24:25], v[24:25], v[44:45]
	v_add_f64 v[32:33], v[32:33], v[40:41]
	v_add_f64 v[10:11], v[60:61], v[50:51]
	v_fma_f64 v[40:41], v[26:27], s[4:5], v[6:7]
	v_fma_f64 v[6:7], v[26:27], s[6:7], v[6:7]
	;; [unrolled: 1-line block ×8, first 2 shown]
	ds_write2_b64 v8, v[28:29], v[40:41] offset1:1
	ds_write2_b64 v8, v[24:25], v[26:27] offset0:189 offset1:190
	ds_write2_b64 v8, v[6:7], v[22:23] offset0:2 offset1:191
	ds_write2_b64 v46, v[32:33], v[44:45] offset1:1
	ds_write_b64 v8, v[30:31] offset:3040
	s_and_saveexec_b32 s1, s0
	s_cbranch_execz .LBB0_21
; %bb.20:
	ds_write2_b64 v9, v[10:11], v[12:13] offset1:1
	ds_write_b64 v8, v[36:37] offset:4552
.LBB0_21:
	s_or_b32 exec_lo, exec_lo, s1
	v_add_nc_u32_e32 v6, 0x800, v80
	s_waitcnt lgkmcnt(0)
	s_barrier
	buffer_gl0_inv
	ds_read2_b64 v[26:29], v80 offset1:63
	ds_read2_b64 v[22:25], v80 offset0:126 offset1:210
	ds_read2_b64 v[30:33], v6 offset0:164 offset1:227
	;; [unrolled: 1-line block ×3, first 2 shown]
	ds_read_b64 v[38:39], v80 offset:4368
	s_and_saveexec_b32 s1, s0
	s_cbranch_execz .LBB0_23
; %bb.22:
	v_add_nc_u32_e32 v10, 0x500, v80
	ds_read2_b64 v[10:13], v10 offset0:29 offset1:239
	ds_read_b64 v[36:37], v80 offset:4872
.LBB0_23:
	s_or_b32 exec_lo, exec_lo, s1
	v_and_b32_e32 v57, 0xff, v72
	v_add_nc_u16 v73, v72, 63
	v_add_nc_u32_e32 v48, 0xbd, v72
	v_mov_b32_e32 v46, 5
	s_mov_b32 s4, 0xe8584caa
	v_mul_lo_u16 v40, 0xab, v57
	v_and_b32_e32 v76, 0xff, v73
	v_and_b32_e32 v44, 0xff, v48
	s_mov_b32 s5, 0xbfebb67a
	s_mov_b32 s7, 0x3febb67a
	v_lshrrev_b16 v79, 9, v40
	v_add_nc_u16 v40, v72, 0x7e
	v_mul_lo_u16 v43, 0xab, v76
	s_mov_b32 s6, s4
	v_mul_lo_u16 v41, v79, 3
	v_and_b32_e32 v42, 0xff, v40
	v_lshrrev_b16 v108, 9, v43
	v_sub_nc_u16 v107, v72, v41
	v_mul_lo_u16 v41, 0xab, v42
	v_mul_lo_u16 v42, 0xab, v44
	v_lshlrev_b32_sdwa v47, v46, v107 dst_sel:DWORD dst_unused:UNUSED_PAD src0_sel:DWORD src1_sel:BYTE_0
	v_lshrrev_b16 v109, 9, v41
	v_lshrrev_b16 v58, 9, v42
	v_mul_lo_u16 v41, v108, 3
	global_load_dwordx4 v[42:45], v47, s[12:13] offset:16
	v_mul_lo_u16 v49, v109, 3
	v_sub_nc_u16 v110, v73, v41
	v_mul_lo_u16 v41, v58, 3
	v_sub_nc_u16 v111, v40, v49
	v_lshlrev_b32_sdwa v40, v46, v110 dst_sel:DWORD dst_unused:UNUSED_PAD src0_sel:DWORD src1_sel:BYTE_0
	v_sub_nc_u16 v59, v48, v41
	v_lshlrev_b32_sdwa v41, v46, v111 dst_sel:DWORD dst_unused:UNUSED_PAD src0_sel:DWORD src1_sel:BYTE_0
	global_load_dwordx4 v[53:56], v40, s[12:13] offset:16
	v_lshlrev_b32_sdwa v46, v46, v59 dst_sel:DWORD dst_unused:UNUSED_PAD src0_sel:DWORD src1_sel:BYTE_0
	s_clause 0x5
	global_load_dwordx4 v[81:84], v40, s[12:13]
	global_load_dwordx4 v[85:88], v41, s[12:13]
	;; [unrolled: 1-line block ×3, first 2 shown]
	global_load_dwordx4 v[93:96], v41, s[12:13] offset:16
	global_load_dwordx4 v[97:100], v46, s[12:13] offset:16
	global_load_dwordx4 v[101:104], v46, s[12:13]
	s_waitcnt vmcnt(0) lgkmcnt(0)
	s_barrier
	buffer_gl0_inv
	v_mul_f64 v[40:41], v[30:31], v[44:45]
	v_mul_f64 v[44:45], v[66:67], v[44:45]
	;; [unrolled: 1-line block ×10, first 2 shown]
	v_fma_f64 v[40:41], v[66:67], v[42:43], v[40:41]
	v_mul_f64 v[66:67], v[12:13], v[103:104]
	v_fma_f64 v[30:31], v[30:31], v[42:43], -v[44:45]
	v_fma_f64 v[44:45], v[64:65], v[85:86], v[51:52]
	v_fma_f64 v[51:52], v[16:17], v[89:90], v[60:61]
	;; [unrolled: 1-line block ×3, first 2 shown]
	v_mul_f64 v[68:69], v[62:63], v[83:84]
	v_fma_f64 v[46:47], v[62:63], v[81:82], v[49:50]
	v_mul_f64 v[62:63], v[64:65], v[87:88]
	v_mul_f64 v[64:65], v[4:5], v[103:104]
	v_fma_f64 v[16:17], v[0:1], v[97:98], v[105:106]
	v_mul_f64 v[0:1], v[0:1], v[99:100]
	v_mul_f64 v[60:61], v[34:35], v[95:96]
	v_fma_f64 v[49:50], v[34:35], v[93:94], v[77:78]
	v_fma_f64 v[24:25], v[24:25], v[89:90], -v[91:92]
	v_fma_f64 v[4:5], v[4:5], v[101:102], v[66:67]
	v_fma_f64 v[34:35], v[32:33], v[53:54], -v[55:56]
	v_add_f64 v[66:67], v[14:15], v[44:45]
	v_fma_f64 v[53:54], v[6:7], v[81:82], -v[68:69]
	v_add_f64 v[6:7], v[51:52], v[40:41]
	v_fma_f64 v[55:56], v[8:9], v[85:86], -v[62:63]
	v_fma_f64 v[32:33], v[12:13], v[101:102], -v[64:65]
	v_add_f64 v[64:65], v[20:21], v[46:47]
	v_fma_f64 v[36:37], v[36:37], v[97:98], -v[0:1]
	v_fma_f64 v[8:9], v[38:39], v[93:94], -v[60:61]
	v_add_f64 v[38:39], v[46:47], v[42:43]
	v_add_f64 v[12:13], v[44:45], v[49:50]
	;; [unrolled: 1-line block ×4, first 2 shown]
	v_add_f64 v[62:63], v[24:25], -v[30:31]
	v_add_f64 v[66:67], v[66:67], v[49:50]
	v_fma_f64 v[6:7], v[6:7], -0.5, v[18:19]
	v_add_f64 v[18:19], v[53:54], -v[34:35]
	v_add_f64 v[64:65], v[64:65], v[42:43]
	v_add_f64 v[68:69], v[32:33], -v[36:37]
	v_fma_f64 v[20:21], v[38:39], -0.5, v[20:21]
	v_add_f64 v[38:39], v[55:56], -v[8:9]
	v_fma_f64 v[0:1], v[0:1], -0.5, v[2:3]
	v_fma_f64 v[14:15], v[12:13], -0.5, v[14:15]
	v_add_f64 v[77:78], v[60:61], v[40:41]
	v_mov_b32_e32 v12, 0x48
	v_mov_b32_e32 v13, 3
	v_mul_u32_u24_sdwa v60, v108, v12 dst_sel:DWORD dst_unused:UNUSED_PAD src0_sel:WORD_0 src1_sel:DWORD
	v_fma_f64 v[81:82], v[62:63], s[4:5], v[6:7]
	v_fma_f64 v[61:62], v[62:63], s[6:7], v[6:7]
	v_mul_u32_u24_sdwa v63, v109, v12 dst_sel:DWORD dst_unused:UNUSED_PAD src0_sel:WORD_0 src1_sel:DWORD
	v_fma_f64 v[83:84], v[18:19], s[4:5], v[20:21]
	v_fma_f64 v[18:19], v[18:19], s[6:7], v[20:21]
	;; [unrolled: 1-line block ×6, first 2 shown]
	v_mul_u32_u24_sdwa v38, v79, v12 dst_sel:DWORD dst_unused:UNUSED_PAD src0_sel:WORD_0 src1_sel:DWORD
	v_lshlrev_b32_sdwa v39, v13, v107 dst_sel:DWORD dst_unused:UNUSED_PAD src0_sel:DWORD src1_sel:BYTE_0
	v_lshlrev_b32_sdwa v68, v13, v110 dst_sel:DWORD dst_unused:UNUSED_PAD src0_sel:DWORD src1_sel:BYTE_0
	;; [unrolled: 1-line block ×3, first 2 shown]
	v_add3_u32 v38, 0, v38, v39
	v_add3_u32 v39, 0, v60, v68
	;; [unrolled: 1-line block ×3, first 2 shown]
	ds_write2_b64 v38, v[77:78], v[81:82] offset1:3
	ds_write_b64 v38, v[61:62] offset:48
	ds_write2_b64 v39, v[64:65], v[83:84] offset1:3
	ds_write_b64 v39, v[18:19] offset:48
	;; [unrolled: 2-line block ×3, first 2 shown]
	s_and_saveexec_b32 s1, s0
	s_cbranch_execz .LBB0_25
; %bb.24:
	v_add_f64 v[2:3], v[2:3], v[4:5]
	v_mul_u32_u24_sdwa v12, v58, v12 dst_sel:DWORD dst_unused:UNUSED_PAD src0_sel:WORD_0 src1_sel:DWORD
	v_lshlrev_b32_sdwa v13, v13, v59 dst_sel:DWORD dst_unused:UNUSED_PAD src0_sel:DWORD src1_sel:BYTE_0
	v_add3_u32 v12, 0, v12, v13
	v_add_f64 v[2:3], v[2:3], v[16:17]
	ds_write2_b64 v12, v[2:3], v[6:7] offset1:3
	ds_write_b64 v12, v[0:1] offset:48
.LBB0_25:
	s_or_b32 exec_lo, exec_lo, s1
	v_add_f64 v[2:3], v[24:25], v[30:31]
	v_add_f64 v[12:13], v[53:54], v[34:35]
	;; [unrolled: 1-line block ×5, first 2 shown]
	v_add_f64 v[40:41], v[51:52], -v[40:41]
	v_add_f64 v[51:52], v[28:29], v[53:54]
	v_add_f64 v[53:54], v[22:23], v[55:56]
	v_add_f64 v[42:43], v[46:47], -v[42:43]
	v_lshl_add_u32 v69, v72, 3, 0
	s_waitcnt lgkmcnt(0)
	s_barrier
	buffer_gl0_inv
	v_fma_f64 v[55:56], v[2:3], -0.5, v[26:27]
	v_fma_f64 v[12:13], v[12:13], -0.5, v[28:29]
	v_add_f64 v[28:29], v[44:45], -v[49:50]
	v_fma_f64 v[14:15], v[14:15], -0.5, v[22:23]
	v_add_f64 v[44:45], v[4:5], -v[16:17]
	v_fma_f64 v[46:47], v[18:19], -0.5, v[10:11]
	v_add_nc_u32_e32 v49, 0x800, v80
	v_add_f64 v[30:31], v[61:62], v[30:31]
	v_add_f64 v[34:35], v[51:52], v[34:35]
	;; [unrolled: 1-line block ×3, first 2 shown]
	ds_read2_b64 v[2:5], v80 offset1:63
	ds_read2_b64 v[16:19], v80 offset0:126 offset1:189
	ds_read2_b64 v[20:23], v49 offset0:59 offset1:122
	;; [unrolled: 1-line block ×3, first 2 shown]
	v_fma_f64 v[52:53], v[40:41], s[6:7], v[55:56]
	v_fma_f64 v[40:41], v[40:41], s[4:5], v[55:56]
	;; [unrolled: 1-line block ×8, first 2 shown]
	ds_read_b64 v[28:29], v69 offset:2016
	ds_read_b64 v[12:13], v80 offset:4536
	s_waitcnt lgkmcnt(0)
	s_barrier
	buffer_gl0_inv
	ds_write2_b64 v38, v[30:31], v[52:53] offset1:3
	ds_write_b64 v38, v[40:41] offset:48
	ds_write2_b64 v39, v[34:35], v[54:55] offset1:3
	ds_write_b64 v39, v[42:43] offset:48
	;; [unrolled: 2-line block ×3, first 2 shown]
	s_and_saveexec_b32 s1, s0
	s_cbranch_execz .LBB0_27
; %bb.26:
	v_add_f64 v[10:11], v[10:11], v[32:33]
	v_mov_b32_e32 v30, 0x48
	v_mov_b32_e32 v31, 3
	v_mul_u32_u24_sdwa v30, v58, v30 dst_sel:DWORD dst_unused:UNUSED_PAD src0_sel:WORD_0 src1_sel:DWORD
	v_lshlrev_b32_sdwa v31, v31, v59 dst_sel:DWORD dst_unused:UNUSED_PAD src0_sel:DWORD src1_sel:BYTE_0
	v_add3_u32 v30, 0, v30, v31
	v_add_f64 v[10:11], v[10:11], v[36:37]
	ds_write2_b64 v30, v[10:11], v[14:15] offset1:3
	ds_write_b64 v30, v[8:9] offset:48
.LBB0_27:
	s_or_b32 exec_lo, exec_lo, s1
	v_mul_lo_u16 v10, v57, 57
	v_mul_lo_u16 v11, v76, 57
	v_mov_b32_e32 v30, 6
	s_waitcnt lgkmcnt(0)
	s_barrier
	v_lshrrev_b16 v79, 9, v10
	v_lshrrev_b16 v113, 9, v11
	buffer_gl0_inv
	s_mov_b32 s4, 0x134454ff
	s_mov_b32 s5, 0xbfee6f0e
	v_mul_lo_u16 v10, v79, 9
	v_mul_lo_u16 v11, v113, 9
	s_mov_b32 s7, 0x3fee6f0e
	s_mov_b32 s6, s4
	;; [unrolled: 1-line block ×3, first 2 shown]
	v_sub_nc_u16 v114, v72, v10
	v_sub_nc_u16 v115, v73, v11
	s_mov_b32 s9, 0xbfe2cf23
	s_mov_b32 s15, 0x3fe2cf23
	s_mov_b32 s14, s8
	v_lshlrev_b32_sdwa v10, v30, v114 dst_sel:DWORD dst_unused:UNUSED_PAD src0_sel:DWORD src1_sel:BYTE_0
	v_lshlrev_b32_sdwa v11, v30, v115 dst_sel:DWORD dst_unused:UNUSED_PAD src0_sel:DWORD src1_sel:BYTE_0
	s_mov_b32 s16, 0x372fe950
	s_mov_b32 s17, 0x3fd3c6ef
	v_cmp_gt_u32_e64 s0, 27, v72
	s_clause 0x7
	global_load_dwordx4 v[30:33], v10, s[12:13] offset:96
	global_load_dwordx4 v[34:37], v10, s[12:13] offset:112
	global_load_dwordx4 v[38:41], v10, s[12:13] offset:128
	global_load_dwordx4 v[42:45], v11, s[12:13] offset:96
	global_load_dwordx4 v[53:56], v10, s[12:13] offset:144
	global_load_dwordx4 v[81:84], v11, s[12:13] offset:112
	global_load_dwordx4 v[85:88], v11, s[12:13] offset:128
	global_load_dwordx4 v[89:92], v11, s[12:13] offset:144
	ds_read2_b64 v[93:96], v80 offset0:126 offset1:189
	ds_read_b64 v[10:11], v69 offset:2016
	ds_read2_b64 v[97:100], v49 offset0:59 offset1:122
	ds_read2_b64 v[101:104], v49 offset0:185 offset1:248
	ds_read_b64 v[67:68], v80 offset:4536
	s_waitcnt vmcnt(7) lgkmcnt(4)
	v_mul_f64 v[46:47], v[93:94], v[32:33]
	s_waitcnt vmcnt(6) lgkmcnt(3)
	v_mul_f64 v[50:51], v[10:11], v[36:37]
	;; [unrolled: 2-line block ×3, first 2 shown]
	s_waitcnt vmcnt(4)
	v_mul_f64 v[63:64], v[95:96], v[44:45]
	s_waitcnt vmcnt(3) lgkmcnt(1)
	v_mul_f64 v[65:66], v[103:104], v[55:56]
	s_waitcnt vmcnt(2)
	v_mul_f64 v[77:78], v[97:98], v[83:84]
	s_waitcnt vmcnt(1)
	v_mul_f64 v[105:106], v[101:102], v[87:88]
	s_waitcnt vmcnt(0) lgkmcnt(0)
	v_mul_f64 v[107:108], v[67:68], v[91:92]
	v_mul_f64 v[32:33], v[16:17], v[32:33]
	;; [unrolled: 1-line block ×9, first 2 shown]
	v_fma_f64 v[55:56], v[16:17], v[30:31], v[46:47]
	v_fma_f64 v[57:58], v[28:29], v[34:35], v[50:51]
	v_fma_f64 v[61:62], v[22:23], v[38:39], v[59:60]
	v_fma_f64 v[46:47], v[18:19], v[42:43], v[63:64]
	v_fma_f64 v[65:66], v[26:27], v[53:54], v[65:66]
	v_fma_f64 v[51:52], v[20:21], v[81:82], v[77:78]
	v_fma_f64 v[59:60], v[24:25], v[85:86], v[105:106]
	v_fma_f64 v[63:64], v[12:13], v[89:90], v[107:108]
	v_fma_f64 v[44:45], v[93:94], v[30:31], -v[32:33]
	v_fma_f64 v[26:27], v[10:11], v[34:35], -v[36:37]
	v_fma_f64 v[20:21], v[103:104], v[53:54], -v[109:110]
	v_fma_f64 v[24:25], v[99:100], v[38:39], -v[40:41]
	v_fma_f64 v[42:43], v[95:96], v[42:43], -v[111:112]
	v_fma_f64 v[22:23], v[67:68], v[89:90], -v[91:92]
	v_fma_f64 v[40:41], v[97:98], v[81:82], -v[83:84]
	v_fma_f64 v[67:68], v[101:102], v[85:86], -v[87:88]
	v_add_f64 v[28:29], v[2:3], v[55:56]
	v_add_f64 v[53:54], v[57:58], -v[55:56]
	v_add_f64 v[10:11], v[57:58], v[61:62]
	v_add_f64 v[34:35], v[4:5], v[46:47]
	;; [unrolled: 1-line block ×3, first 2 shown]
	v_add_f64 v[38:39], v[65:66], -v[61:62]
	v_add_f64 v[16:17], v[51:52], v[59:60]
	v_add_f64 v[18:19], v[46:47], v[63:64]
	v_add_f64 v[77:78], v[61:62], -v[65:66]
	v_add_f64 v[81:82], v[46:47], -v[51:52]
	;; [unrolled: 1-line block ×8, first 2 shown]
	v_add_f64 v[28:29], v[28:29], v[57:58]
	v_fma_f64 v[10:11], v[10:11], -0.5, v[2:3]
	v_add_f64 v[34:35], v[34:35], v[51:52]
	v_fma_f64 v[2:3], v[12:13], -0.5, v[2:3]
	v_add_f64 v[12:13], v[40:41], -v[67:68]
	v_fma_f64 v[16:17], v[16:17], -0.5, v[4:5]
	v_fma_f64 v[4:5], v[18:19], -0.5, v[4:5]
	v_add_f64 v[18:19], v[55:56], -v[57:58]
	v_add_f64 v[28:29], v[28:29], v[61:62]
	v_fma_f64 v[89:90], v[30:31], s[4:5], v[10:11]
	v_fma_f64 v[10:11], v[30:31], s[6:7], v[10:11]
	;; [unrolled: 1-line block ×8, first 2 shown]
	v_add_f64 v[18:19], v[18:19], v[38:39]
	v_add_f64 v[38:39], v[53:54], v[77:78]
	v_add_f64 v[53:54], v[81:82], v[83:84]
	v_add_f64 v[34:35], v[34:35], v[59:60]
	v_add_f64 v[77:78], v[85:86], v[87:88]
	v_add_f64 v[28:29], v[28:29], v[65:66]
	v_fma_f64 v[81:82], v[32:33], s[8:9], v[89:90]
	v_fma_f64 v[10:11], v[32:33], s[14:15], v[10:11]
	;; [unrolled: 1-line block ×8, first 2 shown]
	v_add_f64 v[34:35], v[34:35], v[63:64]
	v_fma_f64 v[36:37], v[18:19], s[16:17], v[81:82]
	v_fma_f64 v[81:82], v[18:19], s[16:17], v[10:11]
	;; [unrolled: 1-line block ×8, first 2 shown]
	v_mov_b32_e32 v38, 0x168
	v_mov_b32_e32 v39, 3
	v_add_nc_u32_e32 v77, 0x400, v80
	ds_read2_b64 v[10:13], v80 offset1:63
	s_waitcnt lgkmcnt(0)
	v_mul_u32_u24_sdwa v50, v79, v38 dst_sel:DWORD dst_unused:UNUSED_PAD src0_sel:WORD_0 src1_sel:DWORD
	v_lshlrev_b32_sdwa v53, v39, v114 dst_sel:DWORD dst_unused:UNUSED_PAD src0_sel:DWORD src1_sel:BYTE_0
	v_mul_u32_u24_sdwa v38, v113, v38 dst_sel:DWORD dst_unused:UNUSED_PAD src0_sel:WORD_0 src1_sel:DWORD
	v_lshlrev_b32_sdwa v39, v39, v115 dst_sel:DWORD dst_unused:UNUSED_PAD src0_sel:DWORD src1_sel:BYTE_0
	s_barrier
	buffer_gl0_inv
	v_add3_u32 v78, 0, v50, v53
	v_add3_u32 v79, 0, v38, v39
	ds_write2_b64 v78, v[28:29], v[36:37] offset1:9
	ds_write2_b64 v78, v[32:33], v[2:3] offset0:18 offset1:27
	ds_write_b64 v78, v[81:82] offset:288
	ds_write2_b64 v79, v[34:35], v[30:31] offset1:9
	ds_write2_b64 v79, v[16:17], v[18:19] offset0:18 offset1:27
	ds_write_b64 v79, v[4:5] offset:288
	s_waitcnt lgkmcnt(0)
	s_barrier
	buffer_gl0_inv
	ds_read2_b64 v[28:31], v80 offset1:90
	ds_read2_b64 v[36:39], v77 offset0:52 offset1:142
	ds_read2_b64 v[32:35], v49 offset0:104 offset1:194
	ds_read_b64 v[53:54], v80 offset:4320
                                        ; implicit-def: $vgpr49_vgpr50
	s_and_saveexec_b32 s1, s0
	s_cbranch_execz .LBB0_29
; %bb.28:
	v_add_nc_u32_e32 v0, 0xc00, v80
	ds_read2_b64 v[16:19], v80 offset0:63 offset1:153
	ds_read2_b64 v[4:7], v77 offset0:115 offset1:205
	;; [unrolled: 1-line block ×3, first 2 shown]
	ds_read_b64 v[49:50], v80 offset:4824
.LBB0_29:
	s_or_b32 exec_lo, exec_lo, s1
	v_add_f64 v[81:82], v[26:27], v[24:25]
	v_add_f64 v[83:84], v[44:45], v[20:21]
	v_add_f64 v[85:86], v[40:41], v[67:68]
	v_add_f64 v[87:88], v[42:43], v[22:23]
	v_add_f64 v[89:90], v[10:11], v[44:45]
	v_add_f64 v[55:56], v[55:56], -v[65:66]
	v_add_f64 v[57:58], v[57:58], -v[61:62]
	v_add_f64 v[61:62], v[12:13], v[42:43]
	v_add_f64 v[46:47], v[46:47], -v[63:64]
	v_add_f64 v[51:52], v[51:52], -v[59:60]
	;; [unrolled: 1-line block ×5, first 2 shown]
	s_waitcnt lgkmcnt(0)
	s_barrier
	buffer_gl0_inv
	v_fma_f64 v[65:66], v[81:82], -0.5, v[10:11]
	v_fma_f64 v[10:11], v[83:84], -0.5, v[10:11]
	;; [unrolled: 1-line block ×4, first 2 shown]
	v_add_f64 v[81:82], v[20:21], -v[24:25]
	v_add_f64 v[85:86], v[42:43], -v[40:41]
	;; [unrolled: 1-line block ×3, first 2 shown]
	v_add_f64 v[26:27], v[89:90], v[26:27]
	v_add_f64 v[40:41], v[61:62], v[40:41]
	v_add_f64 v[83:84], v[24:25], -v[20:21]
	v_add_f64 v[87:88], v[22:23], -v[67:68]
	v_fma_f64 v[61:62], v[55:56], s[6:7], v[65:66]
	v_fma_f64 v[65:66], v[55:56], s[4:5], v[65:66]
	;; [unrolled: 1-line block ×8, first 2 shown]
	v_add_f64 v[63:64], v[63:64], v[81:82]
	v_add_f64 v[24:25], v[26:27], v[24:25]
	;; [unrolled: 1-line block ×6, first 2 shown]
	v_fma_f64 v[40:41], v[57:58], s[14:15], v[61:62]
	v_fma_f64 v[57:58], v[57:58], s[8:9], v[65:66]
	;; [unrolled: 1-line block ×8, first 2 shown]
	v_add_f64 v[24:25], v[24:25], v[20:21]
	v_add_f64 v[26:27], v[26:27], v[22:23]
	v_fma_f64 v[40:41], v[63:64], s[16:17], v[40:41]
	v_fma_f64 v[51:52], v[63:64], s[16:17], v[57:58]
	;; [unrolled: 1-line block ×8, first 2 shown]
	v_add_nc_u32_e32 v42, 0x800, v80
	ds_write2_b64 v78, v[24:25], v[40:41] offset1:9
	ds_write2_b64 v78, v[57:58], v[10:11] offset0:18 offset1:27
	ds_write_b64 v78, v[51:52] offset:288
	ds_write2_b64 v79, v[26:27], v[44:45] offset1:9
	ds_write2_b64 v79, v[20:21], v[22:23] offset0:18 offset1:27
	ds_write_b64 v79, v[12:13] offset:288
	s_waitcnt lgkmcnt(0)
	s_barrier
	buffer_gl0_inv
	ds_read2_b64 v[24:27], v80 offset1:90
	ds_read2_b64 v[44:47], v77 offset0:52 offset1:142
	ds_read2_b64 v[40:43], v42 offset0:104 offset1:194
	ds_read_b64 v[57:58], v80 offset:4320
                                        ; implicit-def: $vgpr51_vgpr52
	s_and_saveexec_b32 s1, s0
	s_cbranch_execz .LBB0_31
; %bb.30:
	v_add_nc_u32_e32 v8, 0x400, v80
	v_add_nc_u32_e32 v9, 0xc00, v80
	ds_read2_b64 v[20:23], v80 offset0:63 offset1:153
	ds_read2_b64 v[12:15], v8 offset0:115 offset1:205
	;; [unrolled: 1-line block ×3, first 2 shown]
	ds_read_b64 v[51:52], v80 offset:4824
.LBB0_31:
	s_or_b32 exec_lo, exec_lo, s1
	v_subrev_nc_u32_e32 v55, 45, v72
	v_cmp_gt_u32_e64 s1, 45, v72
	v_mov_b32_e32 v56, 0
	s_mov_b32 s6, 0xe976ee23
	s_mov_b32 s14, 0x37e14327
	;; [unrolled: 1-line block ×3, first 2 shown]
	v_cndmask_b32_e64 v125, v55, v72, s1
	s_mov_b32 s4, 0x429ad128
	s_mov_b32 s15, 0x3fe948f6
	;; [unrolled: 1-line block ×4, first 2 shown]
	v_mul_i32_i24_e32 v55, 6, v125
	s_mov_b32 s9, 0x3fac98ee
	s_mov_b32 s18, 0xb247c609
	;; [unrolled: 1-line block ×4, first 2 shown]
	v_lshlrev_b64 v[55:56], 4, v[55:56]
	s_mov_b32 s23, 0xbff2aaaa
	s_mov_b32 s20, 0x5476071b
	;; [unrolled: 1-line block ×5, first 2 shown]
	v_add_co_u32 v55, s1, s12, v55
	v_add_co_ci_u32_e64 v56, s1, s13, v56, s1
	s_mov_b32 s16, s18
	s_mov_b32 s24, s20
	s_clause 0x5
	global_load_dwordx4 v[59:62], v[55:56], off offset:688
	global_load_dwordx4 v[63:66], v[55:56], off offset:704
	;; [unrolled: 1-line block ×6, first 2 shown]
	v_mul_lo_u16 v55, 0x6d, v76
	s_mov_b32 s26, 0x37c3f68c
	s_mov_b32 s27, 0xbfdc38aa
	v_cmp_lt_u32_e64 s1, 44, v72
	v_lshrrev_b16 v55, 8, v55
	v_sub_nc_u16 v56, v73, v55
	v_lshrrev_b16 v56, 1, v56
	v_and_b32_e32 v56, 0x7f, v56
	v_add_nc_u16 v55, v56, v55
	v_lshrrev_b16 v55, 5, v55
	v_mul_lo_u16 v55, v55, 45
	v_sub_nc_u16 v55, v73, v55
	v_and_b32_e32 v73, 0xff, v55
	v_mul_u32_u24_e32 v55, 6, v73
	v_lshl_add_u32 v73, v73, 3, 0
	v_lshlrev_b32_e32 v55, 4, v55
	s_clause 0x5
	global_load_dwordx4 v[76:79], v55, s[12:13] offset:688
	global_load_dwordx4 v[97:100], v55, s[12:13] offset:704
	;; [unrolled: 1-line block ×6, first 2 shown]
	s_waitcnt vmcnt(0) lgkmcnt(0)
	s_barrier
	buffer_gl0_inv
	v_mul_f64 v[55:56], v[44:45], v[61:62]
	v_mul_f64 v[61:62], v[36:37], v[61:62]
	;; [unrolled: 1-line block ×8, first 2 shown]
	v_fma_f64 v[36:37], v[36:37], v[59:60], v[55:56]
	v_fma_f64 v[44:45], v[44:45], v[59:60], -v[61:62]
	v_mul_f64 v[59:60], v[34:35], v[91:92]
	v_mul_f64 v[61:62], v[32:33], v[95:96]
	v_fma_f64 v[38:39], v[38:39], v[63:64], v[67:68]
	v_mul_f64 v[67:68], v[30:31], v[83:84]
	v_mul_f64 v[83:84], v[53:54], v[87:88]
	v_fma_f64 v[30:31], v[30:31], v[81:82], v[117:118]
	v_fma_f64 v[53:54], v[53:54], v[85:86], v[119:120]
	;; [unrolled: 1-line block ×3, first 2 shown]
	v_fma_f64 v[34:35], v[46:47], v[63:64], -v[65:66]
	v_fma_f64 v[32:33], v[32:33], v[93:94], v[123:124]
	v_fma_f64 v[42:43], v[42:43], v[89:90], -v[59:60]
	v_fma_f64 v[40:41], v[40:41], v[93:94], -v[61:62]
	v_fma_f64 v[26:27], v[26:27], v[81:82], -v[67:68]
	v_fma_f64 v[46:47], v[57:58], v[85:86], -v[83:84]
	v_add_f64 v[57:58], v[30:31], v[53:54]
	v_add_f64 v[59:60], v[36:37], v[55:56]
	v_add_f64 v[67:68], v[38:39], v[32:33]
	v_mul_f64 v[93:94], v[18:19], v[103:104]
	v_mul_f64 v[95:96], v[8:9], v[107:108]
	v_add_f64 v[61:62], v[44:45], -v[42:43]
	v_add_f64 v[63:64], v[40:41], -v[34:35]
	;; [unrolled: 1-line block ×3, first 2 shown]
	v_add_f64 v[81:82], v[59:60], v[57:58]
	v_add_f64 v[87:88], v[57:58], -v[67:68]
	v_add_f64 v[83:84], v[63:64], -v[61:62]
	;; [unrolled: 1-line block ×3, first 2 shown]
	v_add_f64 v[61:62], v[63:64], v[61:62]
	v_add_f64 v[63:64], v[65:66], -v[63:64]
	v_add_f64 v[81:82], v[67:68], v[81:82]
	v_add_f64 v[67:68], v[67:68], -v[59:60]
	v_mul_f64 v[87:88], v[87:88], s[14:15]
	v_mul_f64 v[83:84], v[83:84], s[6:7]
	;; [unrolled: 1-line block ×3, first 2 shown]
	v_add_f64 v[91:92], v[28:29], v[81:82]
	v_add_f64 v[28:29], v[59:60], -v[57:58]
	v_mul_f64 v[57:58], v[67:68], s[8:9]
	v_add_f64 v[59:60], v[61:62], v[65:66]
	v_fma_f64 v[67:68], v[67:68], s[8:9], v[87:88]
	v_fma_f64 v[65:66], v[63:64], s[18:19], v[83:84]
	v_fma_f64 v[61:62], v[85:86], s[4:5], -v[83:84]
	v_mul_f64 v[85:86], v[14:15], v[99:100]
	v_fma_f64 v[63:64], v[63:64], s[16:17], -v[89:90]
	v_mul_f64 v[89:90], v[22:23], v[103:104]
	v_mul_f64 v[103:104], v[10:11], v[111:112]
	v_fma_f64 v[81:82], v[81:82], s[22:23], v[91:92]
	v_fma_f64 v[83:84], v[28:29], s[24:25], -v[87:88]
	v_fma_f64 v[28:29], v[28:29], s[20:21], -v[57:58]
	v_mul_f64 v[57:58], v[12:13], v[78:79]
	v_mul_f64 v[78:79], v[4:5], v[78:79]
	;; [unrolled: 1-line block ×7, first 2 shown]
	v_fma_f64 v[117:118], v[59:60], s[26:27], v[65:66]
	v_fma_f64 v[119:120], v[59:60], s[26:27], v[61:62]
	;; [unrolled: 1-line block ×4, first 2 shown]
	v_add_f64 v[123:124], v[67:68], v[81:82]
	v_add_f64 v[83:84], v[83:84], v[81:82]
	;; [unrolled: 1-line block ×3, first 2 shown]
	v_fma_f64 v[28:29], v[4:5], v[76:77], v[57:58]
	v_fma_f64 v[61:62], v[12:13], v[76:77], -v[78:79]
	v_fma_f64 v[57:58], v[6:7], v[97:98], v[85:86]
	v_fma_f64 v[63:64], v[14:15], v[97:98], -v[87:88]
	v_fma_f64 v[76:77], v[22:23], v[101:102], -v[93:94]
	v_fma_f64 v[22:23], v[0:1], v[105:106], v[95:96]
	v_fma_f64 v[65:66], v[8:9], v[105:106], -v[99:100]
	v_fma_f64 v[67:68], v[2:3], v[109:110], v[103:104]
	;; [unrolled: 2-line block ×3, first 2 shown]
	v_fma_f64 v[51:52], v[51:52], v[113:114], -v[115:116]
	v_cndmask_b32_e64 v12, 0, 0x9d8, s1
	v_lshlrev_b32_e32 v13, 3, v125
	v_add_f64 v[0:1], v[117:118], v[123:124]
	v_add_f64 v[2:3], v[121:122], v[83:84]
	v_add_f64 v[4:5], v[81:82], -v[119:120]
	v_add_f64 v[6:7], v[119:120], v[81:82]
	v_add_f64 v[8:9], v[83:84], -v[121:122]
	v_add_f64 v[10:11], v[123:124], -v[117:118]
	v_add3_u32 v81, 0, v12, v13
	ds_write2_b64 v81, v[91:92], v[0:1] offset1:45
	ds_write2_b64 v81, v[2:3], v[4:5] offset0:90 offset1:135
	ds_write2_b64 v81, v[6:7], v[8:9] offset0:180 offset1:225
	ds_write_b64 v81, v[10:11] offset:2160
	s_and_saveexec_b32 s1, s0
	s_cbranch_execz .LBB0_33
; %bb.32:
	v_add_f64 v[0:1], v[28:29], v[67:68]
	v_add_f64 v[2:3], v[59:60], v[49:50]
	v_add_f64 v[4:5], v[65:66], -v[63:64]
	v_add_f64 v[6:7], v[61:62], -v[78:79]
	v_add_f64 v[8:9], v[57:58], v[22:23]
	v_add_f64 v[10:11], v[76:77], -v[51:52]
	v_add_f64 v[12:13], v[0:1], v[2:3]
	v_add_f64 v[14:15], v[4:5], -v[6:7]
	v_add_f64 v[18:19], v[2:3], -v[8:9]
	v_add_f64 v[82:83], v[6:7], -v[10:11]
	v_add_f64 v[6:7], v[4:5], v[6:7]
	v_add_f64 v[4:5], v[10:11], -v[4:5]
	v_add_f64 v[12:13], v[8:9], v[12:13]
	v_add_f64 v[8:9], v[8:9], -v[0:1]
	v_add_f64 v[0:1], v[0:1], -v[2:3]
	v_mul_f64 v[2:3], v[14:15], s[6:7]
	v_mul_f64 v[14:15], v[18:19], s[14:15]
	;; [unrolled: 1-line block ×3, first 2 shown]
	v_add_f64 v[6:7], v[6:7], v[10:11]
	v_add_f64 v[16:17], v[16:17], v[12:13]
	v_mul_f64 v[84:85], v[8:9], s[8:9]
	v_fma_f64 v[10:11], v[4:5], s[18:19], v[2:3]
	v_fma_f64 v[8:9], v[8:9], s[8:9], v[14:15]
	v_fma_f64 v[86:87], v[0:1], s[24:25], -v[14:15]
	v_fma_f64 v[4:5], v[4:5], s[16:17], -v[18:19]
	;; [unrolled: 1-line block ×3, first 2 shown]
	v_fma_f64 v[12:13], v[12:13], s[22:23], v[16:17]
	v_fma_f64 v[0:1], v[0:1], s[20:21], -v[84:85]
	v_fma_f64 v[10:11], v[6:7], s[26:27], v[10:11]
	v_fma_f64 v[4:5], v[6:7], s[26:27], v[4:5]
	;; [unrolled: 1-line block ×3, first 2 shown]
	v_add_f64 v[8:9], v[8:9], v[12:13]
	v_add_f64 v[6:7], v[86:87], v[12:13]
	;; [unrolled: 1-line block ×4, first 2 shown]
	v_add_f64 v[12:13], v[6:7], -v[4:5]
	v_add_f64 v[14:15], v[0:1], -v[2:3]
	v_add_f64 v[4:5], v[4:5], v[6:7]
	v_add_f64 v[0:1], v[2:3], v[0:1]
	v_add_f64 v[2:3], v[8:9], -v[10:11]
	v_add_nc_u32_e32 v6, 0x800, v73
	v_add_nc_u32_e32 v7, 0xc00, v73
	ds_write2_b64 v6, v[16:17], v[18:19] offset0:59 offset1:104
	ds_write2_b64 v6, v[4:5], v[14:15] offset0:149 offset1:194
	;; [unrolled: 1-line block ×3, first 2 shown]
	ds_write_b64 v73, v[2:3] offset:4680
.LBB0_33:
	s_or_b32 exec_lo, exec_lo, s1
	v_add_f64 v[0:1], v[26:27], v[46:47]
	v_add_f64 v[2:3], v[44:45], v[42:43]
	v_add_f64 v[4:5], v[36:37], -v[55:56]
	v_add_f64 v[6:7], v[34:35], v[40:41]
	v_add_f64 v[8:9], v[32:33], -v[38:39]
	v_add_f64 v[10:11], v[30:31], -v[53:54]
	v_add_nc_u32_e32 v40, 0x200, v80
	v_add_nc_u32_e32 v41, 0x800, v80
	;; [unrolled: 1-line block ×3, first 2 shown]
	s_waitcnt lgkmcnt(0)
	s_barrier
	buffer_gl0_inv
	v_add_f64 v[12:13], v[2:3], v[0:1]
	v_add_f64 v[14:15], v[0:1], -v[6:7]
	v_add_f64 v[16:17], v[8:9], -v[4:5]
	;; [unrolled: 1-line block ×3, first 2 shown]
	v_add_f64 v[4:5], v[8:9], v[4:5]
	v_add_f64 v[8:9], v[10:11], -v[8:9]
	v_add_f64 v[0:1], v[2:3], -v[0:1]
	v_add_f64 v[12:13], v[6:7], v[12:13]
	v_add_f64 v[6:7], v[6:7], -v[2:3]
	v_mul_f64 v[14:15], v[14:15], s[14:15]
	v_mul_f64 v[16:17], v[16:17], s[6:7]
	;; [unrolled: 1-line block ×3, first 2 shown]
	v_add_f64 v[4:5], v[4:5], v[10:11]
	v_add_f64 v[24:25], v[24:25], v[12:13]
	v_mul_f64 v[2:3], v[6:7], s[8:9]
	v_fma_f64 v[6:7], v[6:7], s[8:9], v[14:15]
	v_fma_f64 v[10:11], v[8:9], s[18:19], v[16:17]
	v_fma_f64 v[16:17], v[18:19], s[4:5], -v[16:17]
	v_fma_f64 v[8:9], v[8:9], s[16:17], -v[26:27]
	;; [unrolled: 1-line block ×3, first 2 shown]
	v_fma_f64 v[12:13], v[12:13], s[22:23], v[24:25]
	v_fma_f64 v[0:1], v[0:1], s[20:21], -v[2:3]
	v_fma_f64 v[10:11], v[4:5], s[26:27], v[10:11]
	v_fma_f64 v[16:17], v[4:5], s[26:27], v[16:17]
	;; [unrolled: 1-line block ×3, first 2 shown]
	v_add_f64 v[18:19], v[6:7], v[12:13]
	v_add_f64 v[14:15], v[14:15], v[12:13]
	;; [unrolled: 1-line block ×3, first 2 shown]
	ds_read2_b64 v[4:7], v80 offset1:63
	ds_read2_b64 v[0:3], v69 offset0:189 offset1:252
	v_add_f64 v[26:27], v[18:19], -v[10:11]
	v_add_f64 v[30:31], v[14:15], -v[8:9]
	v_add_f64 v[32:33], v[16:17], v[12:13]
	v_add_f64 v[34:35], v[12:13], -v[16:17]
	v_add_f64 v[36:37], v[8:9], v[14:15]
	v_add_f64 v[38:39], v[10:11], v[18:19]
	ds_read2_b64 v[8:11], v40 offset0:62 offset1:251
	ds_read2_b64 v[16:19], v41 offset0:122 offset1:185
	;; [unrolled: 1-line block ×3, first 2 shown]
	s_waitcnt lgkmcnt(0)
	s_barrier
	buffer_gl0_inv
	ds_write2_b64 v81, v[24:25], v[26:27] offset1:45
	ds_write2_b64 v81, v[30:31], v[32:33] offset0:90 offset1:135
	ds_write2_b64 v81, v[34:35], v[36:37] offset0:180 offset1:225
	ds_write_b64 v81, v[38:39] offset:2160
	s_and_saveexec_b32 s1, s0
	s_cbranch_execz .LBB0_35
; %bb.34:
	v_add_f64 v[24:25], v[76:77], v[51:52]
	v_add_f64 v[26:27], v[61:62], v[78:79]
	;; [unrolled: 1-line block ×3, first 2 shown]
	v_add_f64 v[28:29], v[28:29], -v[67:68]
	v_add_f64 v[22:23], v[22:23], -v[57:58]
	;; [unrolled: 1-line block ×3, first 2 shown]
	s_mov_b32 s4, 0x37e14327
	s_mov_b32 s5, 0x3fe948f6
	;; [unrolled: 1-line block ×10, first 2 shown]
	v_add_f64 v[34:35], v[26:27], v[24:25]
	v_add_f64 v[36:37], v[24:25], -v[30:31]
	v_add_f64 v[38:39], v[30:31], -v[26:27]
	v_add_f64 v[40:41], v[22:23], -v[28:29]
	v_add_f64 v[42:43], v[28:29], -v[32:33]
	v_add_f64 v[24:25], v[26:27], -v[24:25]
	v_add_f64 v[26:27], v[22:23], v[28:29]
	v_add_f64 v[22:23], v[32:33], -v[22:23]
	v_add_f64 v[30:31], v[30:31], v[34:35]
	v_mul_f64 v[28:29], v[36:37], s[4:5]
	s_mov_b32 s4, 0x429ad128
	v_mul_f64 v[36:37], v[40:41], s[8:9]
	s_mov_b32 s5, 0xbfebfeb5
	v_mul_f64 v[34:35], v[38:39], s[6:7]
	v_mul_f64 v[40:41], v[42:43], s[4:5]
	s_mov_b32 s8, 0xaaaaaaaa
	s_mov_b32 s9, 0xbff2aaaa
	v_add_f64 v[26:27], v[26:27], v[32:33]
	v_add_f64 v[20:21], v[20:21], v[30:31]
	v_fma_f64 v[32:33], v[38:39], s[6:7], v[28:29]
	v_fma_f64 v[38:39], v[22:23], s[16:17], v[36:37]
	s_mov_b32 s17, 0x3fd5d0dc
	v_fma_f64 v[34:35], v[24:25], s[14:15], -v[34:35]
	s_mov_b32 s15, 0xbfe77f67
	v_fma_f64 v[36:37], v[42:43], s[4:5], -v[36:37]
	v_fma_f64 v[22:23], v[22:23], s[16:17], -v[40:41]
	v_fma_f64 v[24:25], v[24:25], s[14:15], -v[28:29]
	s_mov_b32 s4, 0x37c3f68c
	s_mov_b32 s5, 0xbfdc38aa
	v_fma_f64 v[30:31], v[30:31], s[8:9], v[20:21]
	v_fma_f64 v[28:29], v[26:27], s[4:5], v[38:39]
	v_fma_f64 v[36:37], v[26:27], s[4:5], v[36:37]
	v_fma_f64 v[22:23], v[26:27], s[4:5], v[22:23]
	v_add_f64 v[26:27], v[32:33], v[30:31]
	v_add_f64 v[24:25], v[24:25], v[30:31]
	;; [unrolled: 1-line block ×3, first 2 shown]
	v_add_f64 v[32:33], v[26:27], -v[28:29]
	v_add_f64 v[34:35], v[24:25], -v[22:23]
	v_add_f64 v[38:39], v[36:37], v[30:31]
	v_add_f64 v[30:31], v[30:31], -v[36:37]
	v_add_f64 v[22:23], v[22:23], v[24:25]
	v_add_f64 v[24:25], v[28:29], v[26:27]
	v_add_nc_u32_e32 v26, 0x800, v73
	v_add_nc_u32_e32 v27, 0xc00, v73
	ds_write2_b64 v26, v[20:21], v[32:33] offset0:59 offset1:104
	ds_write2_b64 v26, v[34:35], v[38:39] offset0:149 offset1:194
	;; [unrolled: 1-line block ×3, first 2 shown]
	ds_write_b64 v73, v[24:25] offset:4680
.LBB0_35:
	s_or_b32 exec_lo, exec_lo, s1
	s_waitcnt lgkmcnt(0)
	s_barrier
	buffer_gl0_inv
	s_and_saveexec_b32 s0, vcc_lo
	s_cbranch_execz .LBB0_37
; %bb.36:
	v_mov_b32_e32 v61, 0
	v_add_nc_u32_e32 v60, 0xfc, v72
	v_add_nc_u32_e32 v66, 63, v72
	v_mul_lo_u32 v52, s3, v74
	v_mul_lo_u32 v53, s2, v75
	v_mov_b32_e32 v49, v61
	v_lshlrev_b64 v[20:21], 4, v[60:61]
	v_mov_b32_e32 v73, v61
	v_mul_hi_u32 v60, 0xa01a01a1, v72
	v_mad_u64_u32 v[62:63], null, s2, v74, 0
	v_lshlrev_b64 v[22:23], 4, v[48:49]
	v_lshlrev_b64 v[24:25], 4, v[72:73]
	v_add_co_u32 v30, vcc_lo, s12, v20
	v_add_co_ci_u32_e32 v31, vcc_lo, s13, v21, vcc_lo
	v_add_co_u32 v20, vcc_lo, s12, v22
	v_add_co_ci_u32_e32 v21, vcc_lo, s13, v23, vcc_lo
	;; [unrolled: 2-line block ×6, first 2 shown]
	s_clause 0x1
	global_load_dwordx4 v[20:23], v[24:25], off offset:1904
	global_load_dwordx4 v[24:27], v[24:25], off offset:896
	v_add_co_u32 v36, vcc_lo, 0x1000, v30
	v_add_co_ci_u32_e32 v37, vcc_lo, 0, v31, vcc_lo
	s_clause 0x2
	global_load_dwordx4 v[28:31], v[28:29], off offset:864
	global_load_dwordx4 v[32:35], v[32:33], off offset:896
	;; [unrolled: 1-line block ×3, first 2 shown]
	ds_read2_b64 v[40:43], v69 offset0:189 offset1:252
	v_add_nc_u32_e32 v67, 0x7e, v72
	v_add_nc_u32_e32 v68, 0xbd, v72
	;; [unrolled: 1-line block ×3, first 2 shown]
	v_lshlrev_b64 v[64:65], 4, v[70:71]
	v_mul_hi_u32 v70, 0xa01a01a1, v66
	v_sub_nc_u32_e32 v74, v72, v60
	v_mul_hi_u32 v71, 0xa01a01a1, v67
	v_mul_hi_u32 v73, 0xa01a01a1, v68
	;; [unrolled: 1-line block ×3, first 2 shown]
	v_add3_u32 v63, v63, v53, v52
	v_lshrrev_b32_e32 v74, 1, v74
	v_add_nc_u32_e32 v48, 0xc00, v80
	v_sub_nc_u32_e32 v76, v66, v70
	v_add_nc_u32_e32 v54, 0x200, v80
	v_lshlrev_b64 v[62:63], 4, v[62:63]
	v_sub_nc_u32_e32 v77, v67, v71
	v_sub_nc_u32_e32 v78, v68, v73
	;; [unrolled: 1-line block ×3, first 2 shown]
	v_add_nc_u32_e32 v60, v74, v60
	v_lshrrev_b32_e32 v74, 1, v76
	v_add_nc_u32_e32 v56, 0x800, v80
	v_lshrrev_b32_e32 v76, 1, v77
	v_lshrrev_b32_e32 v77, 1, v78
	;; [unrolled: 1-line block ×3, first 2 shown]
	ds_read2_b64 v[44:47], v80 offset1:63
	ds_read2_b64 v[48:51], v48 offset0:120 offset1:183
	ds_read2_b64 v[52:55], v54 offset0:62 offset1:251
	;; [unrolled: 1-line block ×3, first 2 shown]
	v_add_co_u32 v62, vcc_lo, s10, v62
	v_lshrrev_b32_e32 v60, 8, v60
	v_add_nc_u32_e32 v70, v74, v70
	v_add_co_ci_u32_e32 v63, vcc_lo, s11, v63, vcc_lo
	v_add_nc_u32_e32 v73, v77, v73
	v_add_nc_u32_e32 v74, v78, v75
	;; [unrolled: 1-line block ×3, first 2 shown]
	v_add_co_u32 v82, vcc_lo, v62, v64
	v_lshrrev_b32_e32 v62, 8, v70
	v_mul_u32_u24_e32 v60, 0x13b, v60
	v_lshrrev_b32_e32 v84, 8, v73
	v_lshrrev_b32_e32 v85, 8, v74
	v_add_co_ci_u32_e32 v83, vcc_lo, v63, v65, vcc_lo
	v_lshrrev_b32_e32 v80, 8, v71
	v_mul_u32_u24_e32 v63, 0x13b, v62
	v_sub_nc_u32_e32 v60, v72, v60
	v_mul_u32_u24_e32 v65, 0x13b, v84
	v_mul_u32_u24_e32 v70, 0x13b, v85
	;; [unrolled: 1-line block ×3, first 2 shown]
	v_sub_nc_u32_e32 v63, v66, v63
	v_lshlrev_b32_e32 v66, 4, v60
	v_sub_nc_u32_e32 v86, v68, v65
	v_sub_nc_u32_e32 v87, v69, v70
	;; [unrolled: 1-line block ×3, first 2 shown]
	v_mad_u32_u24 v60, 0x276, v62, v63
	v_add_co_u32 v62, vcc_lo, v82, v66
	v_add_co_ci_u32_e32 v63, vcc_lo, 0, v83, vcc_lo
	v_lshlrev_b64 v[64:65], 4, v[60:61]
	v_add_nc_u32_e32 v60, 0x13b, v60
	v_add_co_u32 v76, vcc_lo, 0x1000, v62
	v_add_co_ci_u32_e32 v77, vcc_lo, 0, v63, vcc_lo
	v_lshlrev_b64 v[78:79], 4, v[60:61]
	v_mad_u32_u24 v60, 0x276, v80, v81
	v_add_co_u32 v64, vcc_lo, v82, v64
	v_add_co_ci_u32_e32 v65, vcc_lo, v83, v65, vcc_lo
	v_lshlrev_b64 v[80:81], 4, v[60:61]
	v_add_nc_u32_e32 v60, 0x13b, v60
	s_waitcnt vmcnt(4)
	v_mul_f64 v[66:67], v[16:17], v[22:23]
	s_waitcnt vmcnt(3)
	v_mul_f64 v[68:69], v[10:11], v[26:27]
	s_waitcnt lgkmcnt(1)
	v_mul_f64 v[26:27], v[54:55], v[26:27]
	s_waitcnt lgkmcnt(0)
	v_mul_f64 v[22:23], v[56:57], v[22:23]
	s_waitcnt vmcnt(2)
	v_mul_f64 v[70:71], v[18:19], v[30:31]
	v_mul_f64 v[30:31], v[58:59], v[30:31]
	s_waitcnt vmcnt(1)
	v_mul_f64 v[72:73], v[12:13], v[34:35]
	;; [unrolled: 3-line block ×3, first 2 shown]
	v_mul_f64 v[38:39], v[50:51], v[38:39]
	v_fma_f64 v[56:57], v[56:57], v[20:21], -v[66:67]
	v_fma_f64 v[54:55], v[54:55], v[24:25], -v[68:69]
	v_fma_f64 v[10:11], v[10:11], v[24:25], v[26:27]
	v_fma_f64 v[20:21], v[16:17], v[20:21], v[22:23]
	v_fma_f64 v[22:23], v[58:59], v[28:29], -v[70:71]
	v_fma_f64 v[18:19], v[18:19], v[28:29], v[30:31]
	v_fma_f64 v[24:25], v[48:49], v[32:33], -v[72:73]
	;; [unrolled: 2-line block ×3, first 2 shown]
	v_fma_f64 v[30:31], v[14:15], v[36:37], v[38:39]
	v_lshlrev_b64 v[32:33], 4, v[60:61]
	v_mad_u32_u24 v60, 0x276, v84, v86
	v_add_co_u32 v48, vcc_lo, v82, v78
	v_add_co_ci_u32_e32 v49, vcc_lo, v83, v79, vcc_lo
	v_add_co_u32 v50, vcc_lo, v82, v80
	v_lshlrev_b64 v[34:35], 4, v[60:61]
	v_add_co_ci_u32_e32 v51, vcc_lo, v83, v81, vcc_lo
	v_add_f64 v[12:13], v[46:47], -v[56:57]
	v_add_f64 v[16:17], v[44:45], -v[54:55]
	;; [unrolled: 1-line block ×4, first 2 shown]
	v_add_co_u32 v54, vcc_lo, v82, v32
	v_add_f64 v[20:21], v[52:53], -v[22:23]
	v_add_f64 v[18:19], v[8:9], -v[18:19]
	v_add_f64 v[24:25], v[40:41], -v[24:25]
	v_add_f64 v[22:23], v[0:1], -v[26:27]
	v_add_f64 v[28:29], v[42:43], -v[28:29]
	v_add_f64 v[26:27], v[2:3], -v[30:31]
	v_add_co_ci_u32_e32 v55, vcc_lo, v83, v33, vcc_lo
	v_add_nc_u32_e32 v60, 0x13b, v60
	v_add_co_u32 v58, vcc_lo, v82, v34
	v_add_co_ci_u32_e32 v59, vcc_lo, v83, v35, vcc_lo
	v_lshlrev_b64 v[56:57], 4, v[60:61]
	v_mad_u32_u24 v60, 0x276, v85, v87
	v_fma_f64 v[32:33], v[46:47], 2.0, -v[12:13]
	v_fma_f64 v[36:37], v[44:45], 2.0, -v[16:17]
	;; [unrolled: 1-line block ×4, first 2 shown]
	v_lshlrev_b64 v[66:67], 4, v[60:61]
	v_add_nc_u32_e32 v60, 0x13b, v60
	v_fma_f64 v[6:7], v[52:53], 2.0, -v[20:21]
	v_fma_f64 v[4:5], v[8:9], 2.0, -v[18:19]
	v_fma_f64 v[40:41], v[40:41], 2.0, -v[24:25]
	v_fma_f64 v[38:39], v[0:1], 2.0, -v[22:23]
	v_fma_f64 v[44:45], v[42:43], 2.0, -v[28:29]
	v_fma_f64 v[42:43], v[2:3], 2.0, -v[26:27]
	v_add_co_u32 v0, vcc_lo, v82, v56
	v_lshlrev_b64 v[2:3], 4, v[60:61]
	v_add_co_ci_u32_e32 v1, vcc_lo, v83, v57, vcc_lo
	v_add_co_u32 v8, vcc_lo, v82, v66
	v_add_co_ci_u32_e32 v9, vcc_lo, v83, v67, vcc_lo
	v_add_co_u32 v2, vcc_lo, v82, v2
	v_add_co_ci_u32_e32 v3, vcc_lo, v83, v3, vcc_lo
	global_store_dwordx4 v[76:77], v[14:17], off offset:944
	global_store_dwordx4 v[62:63], v[34:37], off
	global_store_dwordx4 v[64:65], v[30:33], off
	global_store_dwordx4 v[48:49], v[10:13], off
	global_store_dwordx4 v[50:51], v[4:7], off
	global_store_dwordx4 v[54:55], v[18:21], off
	global_store_dwordx4 v[58:59], v[38:41], off
	global_store_dwordx4 v[0:1], v[22:25], off
	global_store_dwordx4 v[8:9], v[42:45], off
	global_store_dwordx4 v[2:3], v[26:29], off
.LBB0_37:
	s_endpgm
	.section	.rodata,"a",@progbits
	.p2align	6, 0x0
	.amdhsa_kernel fft_rtc_back_len630_factors_3_3_5_7_2_wgs_63_tpt_63_halfLds_dp_op_CI_CI_unitstride_sbrr_dirReg
		.amdhsa_group_segment_fixed_size 0
		.amdhsa_private_segment_fixed_size 0
		.amdhsa_kernarg_size 104
		.amdhsa_user_sgpr_count 6
		.amdhsa_user_sgpr_private_segment_buffer 1
		.amdhsa_user_sgpr_dispatch_ptr 0
		.amdhsa_user_sgpr_queue_ptr 0
		.amdhsa_user_sgpr_kernarg_segment_ptr 1
		.amdhsa_user_sgpr_dispatch_id 0
		.amdhsa_user_sgpr_flat_scratch_init 0
		.amdhsa_user_sgpr_private_segment_size 0
		.amdhsa_wavefront_size32 1
		.amdhsa_uses_dynamic_stack 0
		.amdhsa_system_sgpr_private_segment_wavefront_offset 0
		.amdhsa_system_sgpr_workgroup_id_x 1
		.amdhsa_system_sgpr_workgroup_id_y 0
		.amdhsa_system_sgpr_workgroup_id_z 0
		.amdhsa_system_sgpr_workgroup_info 0
		.amdhsa_system_vgpr_workitem_id 0
		.amdhsa_next_free_vgpr 126
		.amdhsa_next_free_sgpr 28
		.amdhsa_reserve_vcc 1
		.amdhsa_reserve_flat_scratch 0
		.amdhsa_float_round_mode_32 0
		.amdhsa_float_round_mode_16_64 0
		.amdhsa_float_denorm_mode_32 3
		.amdhsa_float_denorm_mode_16_64 3
		.amdhsa_dx10_clamp 1
		.amdhsa_ieee_mode 1
		.amdhsa_fp16_overflow 0
		.amdhsa_workgroup_processor_mode 1
		.amdhsa_memory_ordered 1
		.amdhsa_forward_progress 0
		.amdhsa_shared_vgpr_count 0
		.amdhsa_exception_fp_ieee_invalid_op 0
		.amdhsa_exception_fp_denorm_src 0
		.amdhsa_exception_fp_ieee_div_zero 0
		.amdhsa_exception_fp_ieee_overflow 0
		.amdhsa_exception_fp_ieee_underflow 0
		.amdhsa_exception_fp_ieee_inexact 0
		.amdhsa_exception_int_div_zero 0
	.end_amdhsa_kernel
	.text
.Lfunc_end0:
	.size	fft_rtc_back_len630_factors_3_3_5_7_2_wgs_63_tpt_63_halfLds_dp_op_CI_CI_unitstride_sbrr_dirReg, .Lfunc_end0-fft_rtc_back_len630_factors_3_3_5_7_2_wgs_63_tpt_63_halfLds_dp_op_CI_CI_unitstride_sbrr_dirReg
                                        ; -- End function
	.section	.AMDGPU.csdata,"",@progbits
; Kernel info:
; codeLenInByte = 9604
; NumSgprs: 30
; NumVgprs: 126
; ScratchSize: 0
; MemoryBound: 1
; FloatMode: 240
; IeeeMode: 1
; LDSByteSize: 0 bytes/workgroup (compile time only)
; SGPRBlocks: 3
; VGPRBlocks: 15
; NumSGPRsForWavesPerEU: 30
; NumVGPRsForWavesPerEU: 126
; Occupancy: 8
; WaveLimiterHint : 1
; COMPUTE_PGM_RSRC2:SCRATCH_EN: 0
; COMPUTE_PGM_RSRC2:USER_SGPR: 6
; COMPUTE_PGM_RSRC2:TRAP_HANDLER: 0
; COMPUTE_PGM_RSRC2:TGID_X_EN: 1
; COMPUTE_PGM_RSRC2:TGID_Y_EN: 0
; COMPUTE_PGM_RSRC2:TGID_Z_EN: 0
; COMPUTE_PGM_RSRC2:TIDIG_COMP_CNT: 0
	.text
	.p2alignl 6, 3214868480
	.fill 48, 4, 3214868480
	.type	__hip_cuid_716284aed6d0b3e,@object ; @__hip_cuid_716284aed6d0b3e
	.section	.bss,"aw",@nobits
	.globl	__hip_cuid_716284aed6d0b3e
__hip_cuid_716284aed6d0b3e:
	.byte	0                               ; 0x0
	.size	__hip_cuid_716284aed6d0b3e, 1

	.ident	"AMD clang version 19.0.0git (https://github.com/RadeonOpenCompute/llvm-project roc-6.4.0 25133 c7fe45cf4b819c5991fe208aaa96edf142730f1d)"
	.section	".note.GNU-stack","",@progbits
	.addrsig
	.addrsig_sym __hip_cuid_716284aed6d0b3e
	.amdgpu_metadata
---
amdhsa.kernels:
  - .args:
      - .actual_access:  read_only
        .address_space:  global
        .offset:         0
        .size:           8
        .value_kind:     global_buffer
      - .offset:         8
        .size:           8
        .value_kind:     by_value
      - .actual_access:  read_only
        .address_space:  global
        .offset:         16
        .size:           8
        .value_kind:     global_buffer
      - .actual_access:  read_only
        .address_space:  global
        .offset:         24
        .size:           8
        .value_kind:     global_buffer
      - .actual_access:  read_only
        .address_space:  global
        .offset:         32
        .size:           8
        .value_kind:     global_buffer
      - .offset:         40
        .size:           8
        .value_kind:     by_value
      - .actual_access:  read_only
        .address_space:  global
        .offset:         48
        .size:           8
        .value_kind:     global_buffer
      - .actual_access:  read_only
        .address_space:  global
        .offset:         56
        .size:           8
        .value_kind:     global_buffer
      - .offset:         64
        .size:           4
        .value_kind:     by_value
      - .actual_access:  read_only
        .address_space:  global
        .offset:         72
        .size:           8
        .value_kind:     global_buffer
      - .actual_access:  read_only
        .address_space:  global
        .offset:         80
        .size:           8
        .value_kind:     global_buffer
      - .actual_access:  read_only
        .address_space:  global
        .offset:         88
        .size:           8
        .value_kind:     global_buffer
      - .actual_access:  write_only
        .address_space:  global
        .offset:         96
        .size:           8
        .value_kind:     global_buffer
    .group_segment_fixed_size: 0
    .kernarg_segment_align: 8
    .kernarg_segment_size: 104
    .language:       OpenCL C
    .language_version:
      - 2
      - 0
    .max_flat_workgroup_size: 63
    .name:           fft_rtc_back_len630_factors_3_3_5_7_2_wgs_63_tpt_63_halfLds_dp_op_CI_CI_unitstride_sbrr_dirReg
    .private_segment_fixed_size: 0
    .sgpr_count:     30
    .sgpr_spill_count: 0
    .symbol:         fft_rtc_back_len630_factors_3_3_5_7_2_wgs_63_tpt_63_halfLds_dp_op_CI_CI_unitstride_sbrr_dirReg.kd
    .uniform_work_group_size: 1
    .uses_dynamic_stack: false
    .vgpr_count:     126
    .vgpr_spill_count: 0
    .wavefront_size: 32
    .workgroup_processor_mode: 1
amdhsa.target:   amdgcn-amd-amdhsa--gfx1030
amdhsa.version:
  - 1
  - 2
...

	.end_amdgpu_metadata
